;; amdgpu-corpus repo=ROCm/rocFFT kind=compiled arch=gfx906 opt=O3
	.text
	.amdgcn_target "amdgcn-amd-amdhsa--gfx906"
	.amdhsa_code_object_version 6
	.protected	fft_rtc_back_len936_factors_2_2_13_2_3_3_wgs_234_tpt_78_halfLds_half_ip_CI_unitstride_sbrr_C2R_dirReg ; -- Begin function fft_rtc_back_len936_factors_2_2_13_2_3_3_wgs_234_tpt_78_halfLds_half_ip_CI_unitstride_sbrr_C2R_dirReg
	.globl	fft_rtc_back_len936_factors_2_2_13_2_3_3_wgs_234_tpt_78_halfLds_half_ip_CI_unitstride_sbrr_C2R_dirReg
	.p2align	8
	.type	fft_rtc_back_len936_factors_2_2_13_2_3_3_wgs_234_tpt_78_halfLds_half_ip_CI_unitstride_sbrr_C2R_dirReg,@function
fft_rtc_back_len936_factors_2_2_13_2_3_3_wgs_234_tpt_78_halfLds_half_ip_CI_unitstride_sbrr_C2R_dirReg: ; @fft_rtc_back_len936_factors_2_2_13_2_3_3_wgs_234_tpt_78_halfLds_half_ip_CI_unitstride_sbrr_C2R_dirReg
; %bb.0:
	s_load_dwordx2 s[2:3], s[4:5], 0x50
	s_load_dwordx4 s[8:11], s[4:5], 0x0
	s_load_dwordx2 s[12:13], s[4:5], 0x18
	v_mul_u32_u24_e32 v1, 0x349, v0
	v_lshrrev_b32_e32 v1, 16, v1
	v_mad_u64_u32 v[1:2], s[0:1], s6, 3, v[1:2]
	v_mov_b32_e32 v5, 0
	s_waitcnt lgkmcnt(0)
	v_cmp_lt_u64_e64 s[0:1], s[10:11], 2
	v_mov_b32_e32 v2, v5
	v_mov_b32_e32 v3, 0
	;; [unrolled: 1-line block ×3, first 2 shown]
	s_and_b64 vcc, exec, s[0:1]
	v_mov_b32_e32 v4, 0
	v_mov_b32_e32 v9, v1
	s_cbranch_vccnz .LBB0_8
; %bb.1:
	s_load_dwordx2 s[0:1], s[4:5], 0x10
	s_add_u32 s6, s12, 8
	s_addc_u32 s7, s13, 0
	v_mov_b32_e32 v3, 0
	v_mov_b32_e32 v8, v2
	s_waitcnt lgkmcnt(0)
	s_add_u32 s16, s0, 8
	s_mov_b64 s[14:15], 1
	v_mov_b32_e32 v4, 0
	s_addc_u32 s17, s1, 0
	v_mov_b32_e32 v7, v1
.LBB0_2:                                ; =>This Inner Loop Header: Depth=1
	s_load_dwordx2 s[18:19], s[16:17], 0x0
                                        ; implicit-def: $vgpr9_vgpr10
	s_waitcnt lgkmcnt(0)
	v_or_b32_e32 v6, s19, v8
	v_cmp_ne_u64_e32 vcc, 0, v[5:6]
	s_and_saveexec_b64 s[0:1], vcc
	s_xor_b64 s[20:21], exec, s[0:1]
	s_cbranch_execz .LBB0_4
; %bb.3:                                ;   in Loop: Header=BB0_2 Depth=1
	v_cvt_f32_u32_e32 v2, s18
	v_cvt_f32_u32_e32 v6, s19
	s_sub_u32 s0, 0, s18
	s_subb_u32 s1, 0, s19
	v_mac_f32_e32 v2, 0x4f800000, v6
	v_rcp_f32_e32 v2, v2
	v_mul_f32_e32 v2, 0x5f7ffffc, v2
	v_mul_f32_e32 v6, 0x2f800000, v2
	v_trunc_f32_e32 v6, v6
	v_mac_f32_e32 v2, 0xcf800000, v6
	v_cvt_u32_f32_e32 v6, v6
	v_cvt_u32_f32_e32 v2, v2
	v_mul_lo_u32 v9, s0, v6
	v_mul_hi_u32 v10, s0, v2
	v_mul_lo_u32 v12, s1, v2
	v_mul_lo_u32 v11, s0, v2
	v_add_u32_e32 v9, v10, v9
	v_add_u32_e32 v9, v9, v12
	v_mul_hi_u32 v10, v2, v11
	v_mul_lo_u32 v12, v2, v9
	v_mul_hi_u32 v14, v2, v9
	v_mul_hi_u32 v13, v6, v11
	v_mul_lo_u32 v11, v6, v11
	v_mul_hi_u32 v15, v6, v9
	v_add_co_u32_e32 v10, vcc, v10, v12
	v_addc_co_u32_e32 v12, vcc, 0, v14, vcc
	v_mul_lo_u32 v9, v6, v9
	v_add_co_u32_e32 v10, vcc, v10, v11
	v_addc_co_u32_e32 v10, vcc, v12, v13, vcc
	v_addc_co_u32_e32 v11, vcc, 0, v15, vcc
	v_add_co_u32_e32 v9, vcc, v10, v9
	v_addc_co_u32_e32 v10, vcc, 0, v11, vcc
	v_add_co_u32_e32 v2, vcc, v2, v9
	v_addc_co_u32_e32 v6, vcc, v6, v10, vcc
	v_mul_lo_u32 v9, s0, v6
	v_mul_hi_u32 v10, s0, v2
	v_mul_lo_u32 v11, s1, v2
	v_mul_lo_u32 v12, s0, v2
	v_add_u32_e32 v9, v10, v9
	v_add_u32_e32 v9, v9, v11
	v_mul_lo_u32 v13, v2, v9
	v_mul_hi_u32 v14, v2, v12
	v_mul_hi_u32 v15, v2, v9
	;; [unrolled: 1-line block ×3, first 2 shown]
	v_mul_lo_u32 v12, v6, v12
	v_mul_hi_u32 v10, v6, v9
	v_add_co_u32_e32 v13, vcc, v14, v13
	v_addc_co_u32_e32 v14, vcc, 0, v15, vcc
	v_mul_lo_u32 v9, v6, v9
	v_add_co_u32_e32 v12, vcc, v13, v12
	v_addc_co_u32_e32 v11, vcc, v14, v11, vcc
	v_addc_co_u32_e32 v10, vcc, 0, v10, vcc
	v_add_co_u32_e32 v9, vcc, v11, v9
	v_addc_co_u32_e32 v10, vcc, 0, v10, vcc
	v_add_co_u32_e32 v2, vcc, v2, v9
	v_addc_co_u32_e32 v6, vcc, v6, v10, vcc
	v_mad_u64_u32 v[9:10], s[0:1], v7, v6, 0
	v_mul_hi_u32 v11, v7, v2
	v_add_co_u32_e32 v13, vcc, v11, v9
	v_addc_co_u32_e32 v14, vcc, 0, v10, vcc
	v_mad_u64_u32 v[9:10], s[0:1], v8, v2, 0
	v_mad_u64_u32 v[11:12], s[0:1], v8, v6, 0
	v_add_co_u32_e32 v2, vcc, v13, v9
	v_addc_co_u32_e32 v2, vcc, v14, v10, vcc
	v_addc_co_u32_e32 v6, vcc, 0, v12, vcc
	v_add_co_u32_e32 v2, vcc, v2, v11
	v_addc_co_u32_e32 v6, vcc, 0, v6, vcc
	v_mul_lo_u32 v11, s19, v2
	v_mul_lo_u32 v12, s18, v6
	v_mad_u64_u32 v[9:10], s[0:1], s18, v2, 0
	v_add3_u32 v10, v10, v12, v11
	v_sub_u32_e32 v11, v8, v10
	v_mov_b32_e32 v12, s19
	v_sub_co_u32_e32 v9, vcc, v7, v9
	v_subb_co_u32_e64 v11, s[0:1], v11, v12, vcc
	v_subrev_co_u32_e64 v12, s[0:1], s18, v9
	v_subbrev_co_u32_e64 v11, s[0:1], 0, v11, s[0:1]
	v_cmp_le_u32_e64 s[0:1], s19, v11
	v_cndmask_b32_e64 v13, 0, -1, s[0:1]
	v_cmp_le_u32_e64 s[0:1], s18, v12
	v_cndmask_b32_e64 v12, 0, -1, s[0:1]
	v_cmp_eq_u32_e64 s[0:1], s19, v11
	v_cndmask_b32_e64 v11, v13, v12, s[0:1]
	v_add_co_u32_e64 v12, s[0:1], 2, v2
	v_addc_co_u32_e64 v13, s[0:1], 0, v6, s[0:1]
	v_add_co_u32_e64 v14, s[0:1], 1, v2
	v_addc_co_u32_e64 v15, s[0:1], 0, v6, s[0:1]
	v_subb_co_u32_e32 v10, vcc, v8, v10, vcc
	v_cmp_ne_u32_e64 s[0:1], 0, v11
	v_cmp_le_u32_e32 vcc, s19, v10
	v_cndmask_b32_e64 v11, v15, v13, s[0:1]
	v_cndmask_b32_e64 v13, 0, -1, vcc
	v_cmp_le_u32_e32 vcc, s18, v9
	v_cndmask_b32_e64 v9, 0, -1, vcc
	v_cmp_eq_u32_e32 vcc, s19, v10
	v_cndmask_b32_e32 v9, v13, v9, vcc
	v_cmp_ne_u32_e32 vcc, 0, v9
	v_cndmask_b32_e32 v10, v6, v11, vcc
	v_cndmask_b32_e64 v6, v14, v12, s[0:1]
	v_cndmask_b32_e32 v9, v2, v6, vcc
.LBB0_4:                                ;   in Loop: Header=BB0_2 Depth=1
	s_andn2_saveexec_b64 s[0:1], s[20:21]
	s_cbranch_execz .LBB0_6
; %bb.5:                                ;   in Loop: Header=BB0_2 Depth=1
	v_cvt_f32_u32_e32 v2, s18
	s_sub_i32 s20, 0, s18
	v_rcp_iflag_f32_e32 v2, v2
	v_mul_f32_e32 v2, 0x4f7ffffe, v2
	v_cvt_u32_f32_e32 v2, v2
	v_mul_lo_u32 v6, s20, v2
	v_mul_hi_u32 v6, v2, v6
	v_add_u32_e32 v2, v2, v6
	v_mul_hi_u32 v2, v7, v2
	v_mul_lo_u32 v6, v2, s18
	v_add_u32_e32 v9, 1, v2
	v_sub_u32_e32 v6, v7, v6
	v_subrev_u32_e32 v10, s18, v6
	v_cmp_le_u32_e32 vcc, s18, v6
	v_cndmask_b32_e32 v6, v6, v10, vcc
	v_cndmask_b32_e32 v2, v2, v9, vcc
	v_add_u32_e32 v9, 1, v2
	v_cmp_le_u32_e32 vcc, s18, v6
	v_cndmask_b32_e32 v9, v2, v9, vcc
	v_mov_b32_e32 v10, v5
.LBB0_6:                                ;   in Loop: Header=BB0_2 Depth=1
	s_or_b64 exec, exec, s[0:1]
	v_mul_lo_u32 v2, v10, s18
	v_mul_lo_u32 v6, v9, s19
	v_mad_u64_u32 v[11:12], s[0:1], v9, s18, 0
	s_load_dwordx2 s[0:1], s[6:7], 0x0
	s_add_u32 s14, s14, 1
	v_add3_u32 v2, v12, v6, v2
	v_sub_co_u32_e32 v6, vcc, v7, v11
	v_subb_co_u32_e32 v2, vcc, v8, v2, vcc
	s_waitcnt lgkmcnt(0)
	v_mul_lo_u32 v2, s0, v2
	v_mul_lo_u32 v7, s1, v6
	v_mad_u64_u32 v[3:4], s[0:1], s0, v6, v[3:4]
	s_addc_u32 s15, s15, 0
	s_add_u32 s6, s6, 8
	v_add3_u32 v4, v7, v4, v2
	v_mov_b32_e32 v6, s10
	v_mov_b32_e32 v7, s11
	s_addc_u32 s7, s7, 0
	v_cmp_ge_u64_e32 vcc, s[14:15], v[6:7]
	s_add_u32 s16, s16, 8
	s_addc_u32 s17, s17, 0
	s_cbranch_vccnz .LBB0_8
; %bb.7:                                ;   in Loop: Header=BB0_2 Depth=1
	v_mov_b32_e32 v7, v9
	v_mov_b32_e32 v8, v10
	s_branch .LBB0_2
.LBB0_8:
	s_lshl_b64 s[0:1], s[10:11], 3
	s_add_u32 s0, s12, s0
	s_addc_u32 s1, s13, s1
	s_load_dwordx2 s[0:1], s[0:1], 0x0
	s_mov_b32 s6, 0xaaaaaaab
	v_mul_hi_u32 v5, v1, s6
	s_waitcnt lgkmcnt(0)
	v_mul_lo_u32 v6, s0, v10
	v_mul_lo_u32 v7, s1, v9
	v_mad_u64_u32 v[2:3], s[0:1], s0, v9, v[3:4]
	s_load_dwordx2 s[0:1], s[4:5], 0x20
	s_mov_b32 s4, 0x3483484
	v_lshrrev_b32_e32 v4, 1, v5
	v_mul_hi_u32 v5, v0, s4
	v_lshl_add_u32 v4, v4, 1, v4
	v_add3_u32 v3, v7, v3, v6
	v_sub_u32_e32 v1, v1, v4
	v_mul_u32_u24_e32 v6, 0x3a9, v1
	s_waitcnt lgkmcnt(0)
	v_cmp_gt_u64_e32 vcc, s[0:1], v[9:10]
	v_mul_u32_u24_e32 v1, 0x4e, v5
	v_lshlrev_b64 v[2:3], 2, v[2:3]
	v_sub_u32_e32 v0, v0, v1
	v_lshlrev_b32_e32 v21, 2, v6
	s_and_saveexec_b64 s[4:5], vcc
	s_cbranch_execz .LBB0_12
; %bb.9:
	v_mov_b32_e32 v1, 0
	v_mov_b32_e32 v5, s3
	v_add_co_u32_e64 v4, s[0:1], s2, v2
	v_lshlrev_b64 v[7:8], 2, v[0:1]
	v_addc_co_u32_e64 v5, s[0:1], v5, v3, s[0:1]
	v_add_co_u32_e64 v7, s[0:1], v4, v7
	v_addc_co_u32_e64 v8, s[0:1], v5, v8, s[0:1]
	global_load_dword v9, v[7:8], off
	global_load_dword v10, v[7:8], off offset:312
	global_load_dword v11, v[7:8], off offset:624
	;; [unrolled: 1-line block ×11, first 2 shown]
	v_lshlrev_b32_e32 v1, 2, v0
	s_movk_i32 s0, 0x4d
	v_add3_u32 v1, 0, v21, v1
	v_cmp_eq_u32_e64 s[0:1], s0, v0
	v_add_u32_e32 v7, 0x400, v1
	v_add_u32_e32 v8, 0x600, v1
	;; [unrolled: 1-line block ×4, first 2 shown]
	s_waitcnt vmcnt(10)
	ds_write2_b32 v1, v9, v10 offset1:78
	s_waitcnt vmcnt(8)
	ds_write2_b32 v1, v11, v12 offset0:156 offset1:234
	s_waitcnt vmcnt(6)
	ds_write2_b32 v7, v13, v14 offset0:56 offset1:134
	;; [unrolled: 2-line block ×5, first 2 shown]
	s_and_saveexec_b64 s[6:7], s[0:1]
	s_cbranch_execz .LBB0_11
; %bb.10:
	global_load_dword v0, v[4:5], off offset:3744
	s_waitcnt vmcnt(0)
	ds_write_b32 v1, v0 offset:3436
	v_mov_b32_e32 v0, 0x4d
.LBB0_11:
	s_or_b64 exec, exec, s[6:7]
.LBB0_12:
	s_or_b64 exec, exec, s[4:5]
	v_lshl_add_u32 v20, v6, 2, 0
	v_lshlrev_b32_e32 v7, 2, v0
	v_add_u32_e32 v22, v20, v7
	s_waitcnt lgkmcnt(0)
	s_barrier
	v_sub_u32_e32 v6, v20, v7
	ds_read_u16 v10, v22
	ds_read_u16 v11, v6 offset:3744
	v_cmp_ne_u32_e64 s[0:1], 0, v0
                                        ; implicit-def: $vgpr4_vgpr5
	s_waitcnt lgkmcnt(0)
	v_add_f16_e32 v8, v11, v10
	v_sub_f16_e32 v9, v10, v11
	s_and_saveexec_b64 s[4:5], s[0:1]
	s_xor_b64 s[4:5], exec, s[4:5]
	s_cbranch_execz .LBB0_14
; %bb.13:
	v_mov_b32_e32 v1, 0
	v_lshlrev_b64 v[4:5], 2, v[0:1]
	v_mov_b32_e32 v8, s9
	v_add_co_u32_e64 v4, s[0:1], s8, v4
	v_addc_co_u32_e64 v5, s[0:1], v8, v5, s[0:1]
	global_load_dword v4, v[4:5], off offset:3736
	ds_read_u16 v5, v6 offset:3746
	ds_read_u16 v8, v22 offset:2
	v_add_f16_e32 v9, v11, v10
	v_sub_f16_e32 v10, v10, v11
	s_waitcnt lgkmcnt(0)
	v_add_f16_e32 v11, v5, v8
	v_sub_f16_e32 v5, v8, v5
	s_waitcnt vmcnt(0)
	v_lshrrev_b32_e32 v8, 16, v4
	v_fma_f16 v12, v10, v8, v9
	v_fma_f16 v13, v11, v8, v5
	v_fma_f16 v14, -v10, v8, v9
	v_fma_f16 v5, v11, v8, -v5
	v_fma_f16 v8, -v4, v11, v12
	v_fma_f16 v9, v10, v4, v13
	v_fma_f16 v11, v4, v11, v14
	;; [unrolled: 1-line block ×3, first 2 shown]
	v_pack_b32_f16 v4, v11, v4
	ds_write_b32 v6, v4 offset:3744
	v_mov_b32_e32 v5, v1
	v_mov_b32_e32 v4, v0
.LBB0_14:
	s_andn2_saveexec_b64 s[0:1], s[4:5]
	s_cbranch_execz .LBB0_16
; %bb.15:
	ds_read_b32 v1, v20 offset:1872
	s_mov_b32 s4, 0xc0004000
	v_mov_b32_e32 v4, 0
	v_mov_b32_e32 v5, 0
	s_waitcnt lgkmcnt(0)
	v_pk_mul_f16 v1, v1, s4
	ds_write_b32 v20, v1 offset:1872
.LBB0_16:
	s_or_b64 exec, exec, s[0:1]
	s_add_u32 s0, s8, 0xe98
	v_lshlrev_b64 v[4:5], 2, v[4:5]
	s_addc_u32 s1, s9, 0
	v_mov_b32_e32 v1, s1
	v_add_co_u32_e64 v4, s[0:1], s0, v4
	v_addc_co_u32_e64 v5, s[0:1], v1, v5, s[0:1]
	global_load_dword v1, v[4:5], off offset:312
	global_load_dword v10, v[4:5], off offset:624
	;; [unrolled: 1-line block ×4, first 2 shown]
	s_mov_b32 s0, 0x5040100
	v_perm_b32 v8, v9, v8, s0
	ds_write_b32 v22, v8
	ds_read_b32 v8, v22 offset:312
	ds_read_b32 v9, v6 offset:3432
	global_load_dword v4, v[4:5], off offset:1560
	v_add_u32_e32 v25, 0x4e, v0
	v_add_u32_e32 v24, 0x9c, v0
	;; [unrolled: 1-line block ×3, first 2 shown]
	s_waitcnt lgkmcnt(0)
	v_add_f16_e32 v5, v8, v9
	v_add_f16_sdwa v13, v9, v8 dst_sel:DWORD dst_unused:UNUSED_PAD src0_sel:WORD_1 src1_sel:WORD_1
	v_sub_f16_e32 v14, v8, v9
	v_sub_f16_sdwa v8, v8, v9 dst_sel:DWORD dst_unused:UNUSED_PAD src0_sel:WORD_1 src1_sel:WORD_1
	v_add_u32_e32 v27, 0x138, v0
	v_add_u32_e32 v26, 0x186, v0
	v_and_b32_e32 v33, 1, v0
	s_movk_i32 s1, 0xfc
	s_mov_b32 s0, 0xffff
                                        ; implicit-def: $vgpr43
	s_waitcnt vmcnt(4)
	v_lshrrev_b32_e32 v9, 16, v1
	v_fma_f16 v15, v14, v9, v5
	v_fma_f16 v16, v13, v9, v8
	v_fma_f16 v5, -v14, v9, v5
	v_fma_f16 v8, v13, v9, -v8
	v_fma_f16 v9, -v1, v13, v15
	v_fma_f16 v15, v14, v1, v16
	v_fma_f16 v5, v1, v13, v5
	;; [unrolled: 1-line block ×3, first 2 shown]
	v_pack_b32_f16 v8, v9, v15
	v_pack_b32_f16 v1, v5, v1
	ds_write_b32 v22, v8 offset:312
	ds_write_b32 v6, v1 offset:3432
	ds_read_b32 v1, v22 offset:624
	ds_read_b32 v5, v6 offset:3120
	s_waitcnt vmcnt(3)
	v_lshrrev_b32_e32 v8, 16, v10
	s_waitcnt lgkmcnt(0)
	v_add_f16_e32 v9, v1, v5
	v_add_f16_sdwa v13, v5, v1 dst_sel:DWORD dst_unused:UNUSED_PAD src0_sel:WORD_1 src1_sel:WORD_1
	v_sub_f16_e32 v14, v1, v5
	v_sub_f16_sdwa v1, v1, v5 dst_sel:DWORD dst_unused:UNUSED_PAD src0_sel:WORD_1 src1_sel:WORD_1
	v_fma_f16 v5, v14, v8, v9
	v_fma_f16 v15, v13, v8, v1
	v_fma_f16 v9, -v14, v8, v9
	v_fma_f16 v1, v13, v8, -v1
	v_fma_f16 v5, -v10, v13, v5
	v_fma_f16 v8, v14, v10, v15
	v_fma_f16 v9, v10, v13, v9
	;; [unrolled: 1-line block ×3, first 2 shown]
	v_pack_b32_f16 v5, v5, v8
	v_pack_b32_f16 v1, v9, v1
	ds_write_b32 v22, v5 offset:624
	ds_write_b32 v6, v1 offset:3120
	ds_read_b32 v1, v22 offset:936
	ds_read_b32 v5, v6 offset:2808
	s_waitcnt vmcnt(2)
	v_lshrrev_b32_e32 v9, 16, v11
	v_add_u32_e32 v8, 0, v7
	s_waitcnt lgkmcnt(0)
	v_add_f16_e32 v10, v1, v5
	v_add_f16_sdwa v13, v5, v1 dst_sel:DWORD dst_unused:UNUSED_PAD src0_sel:WORD_1 src1_sel:WORD_1
	v_sub_f16_e32 v14, v1, v5
	v_sub_f16_sdwa v1, v1, v5 dst_sel:DWORD dst_unused:UNUSED_PAD src0_sel:WORD_1 src1_sel:WORD_1
	v_fma_f16 v5, v14, v9, v10
	v_fma_f16 v15, v13, v9, v1
	v_fma_f16 v10, -v14, v9, v10
	v_fma_f16 v1, v13, v9, -v1
	v_fma_f16 v5, -v11, v13, v5
	v_fma_f16 v9, v14, v11, v15
	v_fma_f16 v10, v11, v13, v10
	;; [unrolled: 1-line block ×3, first 2 shown]
	v_pack_b32_f16 v5, v5, v9
	v_pack_b32_f16 v1, v10, v1
	ds_write_b32 v22, v5 offset:936
	ds_write_b32 v6, v1 offset:2808
	ds_read_b32 v5, v22 offset:1248
	ds_read_b32 v9, v6 offset:2496
	v_add_u32_e32 v1, v8, v21
	v_add_u32_e32 v14, v1, v7
	s_waitcnt vmcnt(1)
	v_lshrrev_b32_e32 v7, 16, v12
	v_add_u32_e32 v30, 0x400, v1
	s_waitcnt lgkmcnt(0)
	v_add_f16_e32 v8, v5, v9
	v_add_f16_sdwa v10, v9, v5 dst_sel:DWORD dst_unused:UNUSED_PAD src0_sel:WORD_1 src1_sel:WORD_1
	v_sub_f16_e32 v11, v5, v9
	v_sub_f16_sdwa v5, v5, v9 dst_sel:DWORD dst_unused:UNUSED_PAD src0_sel:WORD_1 src1_sel:WORD_1
	v_fma_f16 v9, v11, v7, v8
	v_fma_f16 v13, v10, v7, v5
	v_fma_f16 v8, -v11, v7, v8
	v_fma_f16 v5, v10, v7, -v5
	v_fma_f16 v7, -v12, v10, v9
	v_fma_f16 v9, v11, v12, v13
	v_fma_f16 v8, v12, v10, v8
	;; [unrolled: 1-line block ×3, first 2 shown]
	v_pack_b32_f16 v7, v7, v9
	v_pack_b32_f16 v5, v8, v5
	ds_write_b32 v22, v7 offset:1248
	ds_write_b32 v6, v5 offset:2496
	ds_read_b32 v5, v22 offset:1560
	ds_read_b32 v7, v6 offset:2184
	s_waitcnt vmcnt(0)
	v_lshrrev_b32_e32 v8, 16, v4
	v_add_u32_e32 v19, 0x800, v1
	v_add_u32_e32 v35, 0x200, v1
	;; [unrolled: 1-line block ×3, first 2 shown]
	s_waitcnt lgkmcnt(0)
	v_add_f16_e32 v9, v5, v7
	v_add_f16_sdwa v10, v7, v5 dst_sel:DWORD dst_unused:UNUSED_PAD src0_sel:WORD_1 src1_sel:WORD_1
	v_sub_f16_e32 v11, v5, v7
	v_sub_f16_sdwa v5, v5, v7 dst_sel:DWORD dst_unused:UNUSED_PAD src0_sel:WORD_1 src1_sel:WORD_1
	v_fma_f16 v7, v11, v8, v9
	v_fma_f16 v12, v10, v8, v5
	v_fma_f16 v9, -v11, v8, v9
	v_fma_f16 v5, v10, v8, -v5
	v_fma_f16 v7, -v4, v10, v7
	v_fma_f16 v8, v11, v4, v12
	v_fma_f16 v9, v4, v10, v9
	;; [unrolled: 1-line block ×3, first 2 shown]
	v_pack_b32_f16 v5, v7, v8
	v_pack_b32_f16 v4, v9, v4
	ds_write_b32 v22, v5 offset:1560
	ds_write_b32 v6, v4 offset:2184
	s_waitcnt lgkmcnt(0)
	s_barrier
	s_barrier
	ds_read2_b32 v[4:5], v30 offset0:134 offset1:212
	ds_read2_b32 v[6:7], v1 offset0:78 offset1:156
	;; [unrolled: 1-line block ×4, first 2 shown]
	ds_read_b32 v16, v22
	ds_read_b32 v17, v1 offset:3432
	ds_read2_b32 v[12:13], v15 offset0:62 offset1:140
	s_waitcnt lgkmcnt(0)
	s_barrier
	v_pk_add_f16 v5, v16, v5 neg_lo:[0,1] neg_hi:[0,1]
	v_pk_fma_f16 v16, v16, 2.0, v5 op_sel_hi:[1,0,1] neg_lo:[0,0,1] neg_hi:[0,0,1]
	ds_write2_b32 v14, v16, v5 offset1:1
	v_lshlrev_b32_e32 v5, 3, v25
	v_pk_add_f16 v8, v6, v8 neg_lo:[0,1] neg_hi:[0,1]
	v_add3_u32 v5, 0, v5, v21
	v_pk_fma_f16 v6, v6, 2.0, v8 op_sel_hi:[1,0,1] neg_lo:[0,0,1] neg_hi:[0,0,1]
	ds_write2_b32 v5, v6, v8 offset1:1
	v_pk_add_f16 v5, v7, v9 neg_lo:[0,1] neg_hi:[0,1]
	v_pk_fma_f16 v6, v7, 2.0, v5 op_sel_hi:[1,0,1] neg_lo:[0,0,1] neg_hi:[0,0,1]
	v_lshlrev_b32_e32 v7, 3, v24
	v_add3_u32 v7, 0, v7, v21
	ds_write2_b32 v7, v6, v5 offset1:1
	v_lshlrev_b32_e32 v5, 3, v23
	v_pk_add_f16 v6, v10, v12 neg_lo:[0,1] neg_hi:[0,1]
	v_add3_u32 v5, 0, v5, v21
	v_pk_fma_f16 v7, v10, 2.0, v6 op_sel_hi:[1,0,1] neg_lo:[0,0,1] neg_hi:[0,0,1]
	ds_write2_b32 v5, v7, v6 offset1:1
	v_pk_add_f16 v5, v11, v13 neg_lo:[0,1] neg_hi:[0,1]
	v_lshlrev_b32_e32 v7, 3, v27
	v_pk_add_f16 v8, v4, v17 neg_lo:[0,1] neg_hi:[0,1]
	v_pk_fma_f16 v6, v11, 2.0, v5 op_sel_hi:[1,0,1] neg_lo:[0,0,1] neg_hi:[0,0,1]
	v_add3_u32 v7, 0, v7, v21
	v_pk_fma_f16 v4, v4, 2.0, v8 op_sel_hi:[1,0,1] neg_lo:[0,0,1] neg_hi:[0,0,1]
	v_lshlrev_b32_e32 v9, 3, v26
	v_add3_u32 v9, 0, v9, v21
	ds_write2_b32 v7, v6, v5 offset1:1
	ds_write2_b32 v9, v4, v8 offset1:1
	v_lshlrev_b32_e32 v4, 2, v33
	s_waitcnt lgkmcnt(0)
	s_barrier
	global_load_dword v6, v4, s[8:9]
	v_lshlrev_b32_e32 v7, 1, v0
	v_and_or_b32 v4, v7, s1, v33
	v_lshlrev_b32_e32 v34, 2, v4
	ds_read2_b32 v[4:5], v15 offset0:62 offset1:140
	ds_read2_b32 v[8:9], v19 offset0:34 offset1:112
	ds_read2_b32 v[11:12], v30 offset0:134 offset1:212
	ds_read2_b32 v[28:29], v35 offset0:106 offset1:184
	ds_read2_b32 v[31:32], v1 offset0:78 offset1:156
	ds_read_b32 v10, v1 offset:3432
	ds_read_b32 v36, v22
	s_waitcnt vmcnt(0) lgkmcnt(0)
	s_barrier
	s_movk_i32 s1, 0x7fc
	v_pk_mul_f16 v13, v6, v5 op_sel:[0,1]
	v_pk_mul_f16 v14, v6, v4 op_sel:[0,1]
	;; [unrolled: 1-line block ×6, first 2 shown]
	v_pk_fma_f16 v37, v6, v5, v13 op_sel:[0,0,1] op_sel_hi:[1,1,0]
	v_pk_fma_f16 v5, v6, v5, v13 op_sel:[0,0,1] op_sel_hi:[1,0,0] neg_lo:[1,0,0] neg_hi:[1,0,0]
	v_pk_fma_f16 v13, v6, v4, v14 op_sel:[0,0,1] op_sel_hi:[1,1,0]
	v_pk_fma_f16 v4, v6, v4, v14 op_sel:[0,0,1] op_sel_hi:[1,0,0] neg_lo:[1,0,0] neg_hi:[1,0,0]
	;; [unrolled: 2-line block ×6, first 2 shown]
	v_bfi_b32 v10, s0, v16, v10
	v_bfi_b32 v4, s0, v13, v4
	;; [unrolled: 1-line block ×4, first 2 shown]
	v_pk_add_f16 v18, v11, v10 neg_lo:[0,1] neg_hi:[0,1]
	v_pk_add_f16 v8, v28, v4 neg_lo:[0,1] neg_hi:[0,1]
	;; [unrolled: 1-line block ×4, first 2 shown]
	v_bfi_b32 v5, s0, v37, v5
	v_bfi_b32 v9, s0, v14, v9
	v_pk_fma_f16 v15, v28, 2.0, v8 op_sel_hi:[1,0,1] neg_lo:[0,0,1] neg_hi:[0,0,1]
	v_add3_u32 v4, 0, v34, v21
	v_pk_fma_f16 v28, v36, 2.0, v12 op_sel_hi:[1,0,1] neg_lo:[0,0,1] neg_hi:[0,0,1]
	s_movk_i32 s0, 0x1fc
	v_lshlrev_b32_e32 v6, 1, v25
	ds_write2_b32 v4, v28, v12 offset1:2
	v_and_or_b32 v4, v6, s0, v33
	v_lshlrev_b32_e32 v4, 2, v4
	v_pk_add_f16 v16, v29, v5 neg_lo:[0,1] neg_hi:[0,1]
	v_pk_fma_f16 v13, v31, 2.0, v10 op_sel_hi:[1,0,1] neg_lo:[0,0,1] neg_hi:[0,0,1]
	v_add3_u32 v4, 0, v4, v21
	s_movk_i32 s0, 0x3fc
	v_lshlrev_b32_e32 v5, 1, v24
	ds_write2_b32 v4, v13, v10 offset1:2
	v_and_or_b32 v4, v5, s0, v33
	v_pk_add_f16 v14, v32, v9 neg_lo:[0,1] neg_hi:[0,1]
	v_lshlrev_b32_e32 v4, 2, v4
	v_pk_fma_f16 v17, v11, 2.0, v18 op_sel_hi:[1,0,1] neg_lo:[0,0,1] neg_hi:[0,0,1]
	v_pk_fma_f16 v11, v32, 2.0, v14 op_sel_hi:[1,0,1] neg_lo:[0,0,1] neg_hi:[0,0,1]
	v_add3_u32 v4, 0, v4, v21
	ds_write2_b32 v4, v11, v14 offset1:2
	v_lshlrev_b32_e32 v4, 1, v27
	v_pk_fma_f16 v9, v29, 2.0, v16 op_sel_hi:[1,0,1] neg_lo:[0,0,1] neg_hi:[0,0,1]
	v_and_or_b32 v29, v4, s0, v33
	v_lshlrev_b32_e32 v4, 1, v26
	v_and_or_b32 v31, v4, s1, v33
	v_lshlrev_b32_e32 v4, 1, v23
	;; [unrolled: 2-line block ×3, first 2 shown]
	v_lshlrev_b32_e32 v29, 2, v29
	v_add3_u32 v32, 0, v32, v21
	v_add3_u32 v29, 0, v29, v21
	ds_write2_b32 v32, v15, v8 offset1:2
	ds_write2_b32 v29, v9, v16 offset1:2
	v_lshlrev_b32_e32 v29, 2, v31
	v_add3_u32 v29, 0, v29, v21
	s_movk_i32 s0, 0x48
	ds_write2_b32 v29, v17, v18 offset1:2
	v_cmp_gt_u32_e64 s[0:1], s0, v0
	v_lshrrev_b32_e32 v32, 16, v17
	v_lshrrev_b32_e32 v34, 16, v18
	v_lshrrev_b32_e32 v31, 16, v9
	v_lshrrev_b32_e32 v33, 16, v16
	v_lshrrev_b32_e32 v36, 16, v15
	v_lshrrev_b32_e32 v37, 16, v8
	v_lshrrev_b32_e32 v38, 16, v11
	v_lshrrev_b32_e32 v40, 16, v14
	v_lshrrev_b32_e32 v39, 16, v13
	v_lshrrev_b32_e32 v41, 16, v10
	v_lshrrev_b32_e32 v29, 16, v28
	v_lshrrev_b32_e32 v42, 16, v12
	s_waitcnt lgkmcnt(0)
	s_barrier
	s_and_saveexec_b64 s[4:5], s[0:1]
	s_cbranch_execz .LBB0_18
; %bb.17:
	v_add_u32_e32 v8, 0x600, v1
	v_add_u32_e32 v14, 0xc00, v1
	ds_read_b32 v28, v22
	ds_read2_b32 v[12:13], v1 offset0:72 offset1:144
	ds_read2_b32 v[10:11], v35 offset0:88 offset1:160
	;; [unrolled: 1-line block ×6, first 2 shown]
	s_waitcnt lgkmcnt(6)
	v_lshrrev_b32_e32 v29, 16, v28
	s_waitcnt lgkmcnt(5)
	v_lshrrev_b32_e32 v42, 16, v12
	;; [unrolled: 2-line block ×4, first 2 shown]
	v_lshrrev_b32_e32 v32, 16, v17
	s_waitcnt lgkmcnt(1)
	v_lshrrev_b32_e32 v34, 16, v18
	v_lshrrev_b32_e32 v43, 16, v19
	;; [unrolled: 1-line block ×5, first 2 shown]
	s_waitcnt lgkmcnt(0)
	v_lshrrev_b32_e32 v40, 16, v14
	v_lshrrev_b32_e32 v36, 16, v15
	;; [unrolled: 1-line block ×3, first 2 shown]
.LBB0_18:
	s_or_b64 exec, exec, s[4:5]
	s_barrier
	s_and_saveexec_b64 s[4:5], s[0:1]
	s_cbranch_execz .LBB0_20
; %bb.19:
	v_and_b32_e32 v30, 3, v0
	v_mul_u32_u24_e32 v35, 12, v30
	v_lshlrev_b32_e32 v35, 2, v35
	global_load_dwordx4 v[44:47], v35, s[8:9] offset:40
	global_load_dwordx4 v[48:51], v35, s[8:9] offset:8
	;; [unrolled: 1-line block ×3, first 2 shown]
	s_movk_i32 s6, 0x388b
	s_mov_b32 s1, 0xb5ac
	s_mov_b32 s0, 0xbbc4
	;; [unrolled: 1-line block ×3, first 2 shown]
	s_movk_i32 s10, 0x2fb7
	s_movk_i32 s11, 0x3b15
	;; [unrolled: 1-line block ×4, first 2 shown]
	s_waitcnt vmcnt(2)
	v_mul_f16_sdwa v35, v43, v47 dst_sel:DWORD dst_unused:UNUSED_PAD src0_sel:DWORD src1_sel:WORD_1
	s_waitcnt vmcnt(1)
	v_mul_f16_sdwa v63, v42, v48 dst_sel:DWORD dst_unused:UNUSED_PAD src0_sel:DWORD src1_sel:WORD_1
	v_mul_f16_sdwa v56, v19, v47 dst_sel:DWORD dst_unused:UNUSED_PAD src0_sel:DWORD src1_sel:WORD_1
	;; [unrolled: 1-line block ×5, first 2 shown]
	v_fma_f16 v19, v19, v47, v35
	v_fma_f16 v12, v12, v48, v63
	v_mul_f16_sdwa v58, v18, v46 dst_sel:DWORD dst_unused:UNUSED_PAD src0_sel:DWORD src1_sel:WORD_1
	v_mul_f16_sdwa v59, v32, v45 dst_sel:DWORD dst_unused:UNUSED_PAD src0_sel:DWORD src1_sel:WORD_1
	;; [unrolled: 1-line block ×7, first 2 shown]
	v_fma_f16 v18, v18, v46, v57
	v_fma_f16 v35, v43, v47, -v56
	v_fma_f16 v13, v13, v49, v65
	v_fma_f16 v42, v42, v48, -v64
	v_sub_f16_e32 v43, v12, v19
	v_mul_f16_sdwa v68, v10, v50 dst_sel:DWORD dst_unused:UNUSED_PAD src0_sel:DWORD src1_sel:WORD_1
	v_mul_f16_sdwa v69, v38, v51 dst_sel:DWORD dst_unused:UNUSED_PAD src0_sel:DWORD src1_sel:WORD_1
	v_fma_f16 v34, v34, v46, -v58
	v_fma_f16 v17, v17, v45, v59
	v_fma_f16 v16, v16, v44, v61
	v_fma_f16 v32, v32, v45, -v60
	v_fma_f16 v33, v33, v44, -v62
	v_fma_f16 v10, v10, v50, v67
	v_fma_f16 v39, v39, v49, -v66
	v_add_f16_e32 v44, v42, v35
	v_sub_f16_e32 v45, v13, v18
	v_mul_f16_e32 v57, 0xba95, v43
	v_mul_f16_sdwa v70, v11, v51 dst_sel:DWORD dst_unused:UNUSED_PAD src0_sel:DWORD src1_sel:WORD_1
	s_waitcnt vmcnt(0)
	v_mul_f16_sdwa v71, v40, v52 dst_sel:DWORD dst_unused:UNUSED_PAD src0_sel:DWORD src1_sel:WORD_1
	v_mul_f16_sdwa v72, v31, v55 dst_sel:DWORD dst_unused:UNUSED_PAD src0_sel:DWORD src1_sel:WORD_1
	v_fma_f16 v11, v11, v51, v69
	v_fma_f16 v41, v41, v50, -v68
	v_add_f16_e32 v46, v39, v34
	v_sub_f16_e32 v47, v10, v17
	v_mul_f16_e32 v58, 0xbb7b, v45
	v_fma_f16 v64, v44, s6, v57
	v_mul_f16_sdwa v73, v9, v55 dst_sel:DWORD dst_unused:UNUSED_PAD src0_sel:DWORD src1_sel:WORD_1
	v_mul_f16_sdwa v74, v14, v52 dst_sel:DWORD dst_unused:UNUSED_PAD src0_sel:DWORD src1_sel:WORD_1
	;; [unrolled: 1-line block ×4, first 2 shown]
	v_fma_f16 v38, v38, v51, -v70
	v_fma_f16 v14, v14, v52, v71
	v_fma_f16 v9, v9, v55, v72
	v_add_f16_e32 v48, v41, v32
	v_sub_f16_e32 v49, v11, v16
	v_mul_f16_e32 v59, 0xb3a8, v47
	v_fma_f16 v65, v46, s1, v58
	v_add_f16_e32 v64, v29, v64
	v_mul_f16_sdwa v77, v8, v54 dst_sel:DWORD dst_unused:UNUSED_PAD src0_sel:DWORD src1_sel:WORD_1
	v_mul_f16_sdwa v78, v15, v53 dst_sel:DWORD dst_unused:UNUSED_PAD src0_sel:DWORD src1_sel:WORD_1
	v_fma_f16 v31, v31, v55, -v73
	v_fma_f16 v40, v40, v52, -v74
	v_fma_f16 v15, v15, v53, v75
	v_fma_f16 v8, v8, v54, v76
	v_add_f16_e32 v50, v38, v33
	v_sub_f16_e32 v51, v14, v9
	v_mul_f16_e32 v60, 0x394e, v49
	v_fma_f16 v66, v48, s0, v59
	v_add_f16_e32 v64, v65, v64
	v_fma_f16 v37, v37, v54, -v77
	v_fma_f16 v36, v36, v53, -v78
	v_add_f16_e32 v52, v40, v31
	v_sub_f16_e32 v53, v15, v8
	v_sub_f16_e32 v56, v42, v35
	v_mul_f16_e32 v61, 0x3bf1, v51
	v_fma_f16 v67, v50, s7, v60
	v_add_f16_e32 v64, v66, v64
	v_add_f16_e32 v54, v36, v37
	;; [unrolled: 1-line block ×3, first 2 shown]
	v_mul_f16_e32 v62, 0x3770, v53
	v_mul_f16_e32 v63, 0xba95, v56
	v_fma_f16 v68, v52, s10, v61
	v_add_f16_e32 v64, v67, v64
	v_sub_f16_e32 v67, v39, v34
	v_fma_f16 v69, v54, s11, v62
	v_fma_f16 v70, v55, s6, -v63
	v_add_f16_e32 v64, v68, v64
	v_add_f16_e32 v66, v13, v18
	v_mul_f16_e32 v68, 0xbb7b, v67
	v_add_f16_e32 v64, v69, v64
	v_add_f16_e32 v65, v28, v70
	v_fma_f16 v69, v66, s1, -v68
	v_sub_f16_e32 v70, v41, v32
	v_add_f16_e32 v65, v69, v65
	v_add_f16_e32 v69, v10, v17
	v_mul_f16_e32 v71, 0xb3a8, v70
	v_fma_f16 v72, v69, s0, -v71
	v_sub_f16_e32 v73, v38, v33
	v_add_f16_e32 v65, v72, v65
	v_add_f16_e32 v72, v11, v16
	v_mul_f16_e32 v74, 0x394e, v73
	v_fma_f16 v75, v72, s7, -v74
	v_sub_f16_e32 v76, v40, v31
	v_add_f16_e32 v65, v75, v65
	v_add_f16_e32 v75, v14, v9
	v_mul_f16_e32 v77, 0x3bf1, v76
	v_fma_f16 v78, v75, s10, -v77
	v_sub_f16_e32 v79, v36, v37
	v_add_f16_e32 v65, v78, v65
	v_add_f16_e32 v78, v15, v8
	v_mul_f16_e32 v80, 0x3770, v79
	v_fma_f16 v81, v78, s11, -v80
	v_add_f16_e32 v65, v81, v65
	v_mul_f16_e32 v81, 0xbbf1, v43
	v_fma_f16 v82, v44, s10, v81
	v_mul_f16_e32 v83, 0xb3a8, v45
	v_add_f16_e32 v82, v29, v82
	v_fma_f16 v84, v46, s0, v83
	v_add_f16_e32 v82, v84, v82
	v_mul_f16_e32 v84, 0x3b7b, v47
	v_fma_f16 v85, v48, s1, v84
	v_add_f16_e32 v82, v85, v82
	v_mul_f16_e32 v85, 0x3770, v49
	;; [unrolled: 3-line block ×5, first 2 shown]
	v_fma_f16 v89, v55, s10, -v88
	v_mul_f16_e32 v90, 0xb3a8, v67
	v_add_f16_e32 v89, v28, v89
	v_fma_f16 v91, v66, s0, -v90
	v_add_f16_e32 v89, v91, v89
	v_mul_f16_e32 v91, 0x3b7b, v70
	v_fma_f16 v92, v69, s1, -v91
	v_add_f16_e32 v89, v92, v89
	v_mul_f16_e32 v92, 0x3770, v73
	;; [unrolled: 3-line block ×5, first 2 shown]
	v_fma_f16 v96, v44, s1, v95
	v_mul_f16_e32 v97, 0x394e, v45
	v_add_f16_e32 v96, v29, v96
	v_fma_f16 v98, v46, s7, v97
	v_add_f16_e32 v96, v98, v96
	v_mul_f16_e32 v98, 0x3770, v47
	v_fma_f16 v99, v48, s11, v98
	v_add_f16_e32 v96, v99, v96
	v_mul_f16_e32 v99, 0xbbf1, v49
	;; [unrolled: 3-line block ×5, first 2 shown]
	v_fma_f16 v103, v55, s1, -v102
	v_mul_f16_e32 v104, 0x394e, v67
	v_add_f16_e32 v103, v28, v103
	v_fma_f16 v105, v66, s7, -v104
	v_add_f16_e32 v103, v105, v103
	v_mul_f16_e32 v105, 0x3770, v70
	v_fma_f16 v106, v69, s11, -v105
	v_add_f16_e32 v103, v106, v103
	v_mul_f16_e32 v106, 0xbbf1, v73
	;; [unrolled: 3-line block ×5, first 2 shown]
	v_fma_f16 v110, v44, s7, v109
	v_mul_f16_e32 v111, 0x3bf1, v45
	v_add_f16_e32 v110, v29, v110
	v_fma_f16 v112, v46, s10, v111
	v_add_f16_e32 v110, v112, v110
	v_mul_f16_e32 v112, 0xba95, v47
	v_fma_f16 v113, v48, s6, v112
	v_add_f16_e32 v110, v113, v110
	v_mul_f16_e32 v113, 0x33a8, v49
	;; [unrolled: 3-line block ×5, first 2 shown]
	v_fma_f16 v117, v55, s7, -v116
	v_mul_f16_e32 v118, 0x3bf1, v67
	v_add_f16_e32 v117, v28, v117
	v_fma_f16 v119, v66, s10, -v118
	v_add_f16_e32 v117, v119, v117
	v_mul_f16_e32 v119, 0xba95, v70
	v_fma_f16 v120, v69, s6, -v119
	v_add_f16_e32 v117, v120, v117
	v_mul_f16_e32 v120, 0x33a8, v73
	v_fma_f16 v57, v44, s6, -v57
	v_fma_f16 v121, v72, s0, -v120
	v_add_f16_e32 v57, v29, v57
	v_fma_f16 v58, v46, s1, -v58
	v_add_f16_e32 v117, v121, v117
	v_mul_f16_e32 v121, 0x3770, v76
	v_add_f16_e32 v57, v58, v57
	v_fma_f16 v58, v48, s0, -v59
	v_fma_f16 v122, v75, s11, -v121
	v_add_f16_e32 v57, v58, v57
	v_fma_f16 v58, v50, s7, -v60
	v_add_f16_e32 v117, v122, v117
	v_mul_f16_e32 v122, 0xbb7b, v79
	v_add_f16_e32 v57, v58, v57
	;; [unrolled: 7-line block ×3, first 2 shown]
	v_fma_f16 v58, v55, s6, v63
	v_fma_f16 v124, v44, s0, v123
	v_mul_f16_e32 v125, 0x3770, v45
	v_add_f16_e32 v58, v28, v58
	v_fma_f16 v59, v66, s1, v68
	v_add_f16_e32 v124, v29, v124
	v_fma_f16 v126, v46, s11, v125
	;; [unrolled: 2-line block ×3, first 2 shown]
	v_add_f16_e32 v124, v126, v124
	v_mul_f16_e32 v126, 0xb94e, v47
	v_add_f16_e32 v58, v59, v58
	v_fma_f16 v59, v72, s7, v74
	v_fma_f16 v127, v48, s7, v126
	v_add_f16_e32 v58, v59, v58
	v_fma_f16 v59, v75, s10, v77
	v_add_f16_e32 v124, v127, v124
	v_mul_f16_e32 v127, 0x3a95, v49
	v_fma_f16 v123, v44, s0, -v123
	v_fma_f16 v109, v44, s7, -v109
	;; [unrolled: 1-line block ×4, first 2 shown]
	v_add_f16_e32 v58, v59, v58
	v_fma_f16 v59, v78, s11, v80
	v_mul_f16_e32 v44, 0x3b15, v44
	v_fma_f16 v128, v50, s6, v127
	v_add_f16_e32 v123, v29, v123
	v_fma_f16 v125, v46, s11, -v125
	v_add_f16_e32 v109, v29, v109
	v_fma_f16 v111, v46, s10, -v111
	;; [unrolled: 2-line block ×4, first 2 shown]
	v_add_f16_e32 v58, v59, v58
	v_fma_f16 v59, v43, s12, v44
	v_mul_f16_e32 v46, 0x388b, v46
	v_add_f16_e32 v12, v28, v12
	v_add_f16_e32 v124, v128, v124
	v_mul_f16_e32 v128, 0xbb7b, v51
	v_add_f16_e32 v123, v125, v123
	v_fma_f16 v125, v48, s7, -v126
	v_add_f16_e32 v109, v111, v109
	v_fma_f16 v111, v48, s6, -v112
	;; [unrolled: 2-line block ×4, first 2 shown]
	v_add_f16_e32 v59, v29, v59
	v_fma_f16 v60, v45, s13, v46
	s_movk_i32 s12, 0x3bf1
	v_mul_f16_e32 v48, 0x2fb7, v48
	v_add_f16_e32 v12, v12, v13
	v_fma_f16 v129, v52, s1, v128
	v_add_f16_e32 v123, v125, v123
	v_fma_f16 v125, v50, s6, -v127
	v_add_f16_e32 v109, v111, v109
	v_fma_f16 v111, v50, s0, -v113
	;; [unrolled: 2-line block ×4, first 2 shown]
	v_add_f16_e32 v59, v60, v59
	v_fma_f16 v60, v47, s12, v48
	s_movk_i32 s12, 0x3b7b
	v_mul_f16_e32 v50, 0xb5ac, v50
	v_add_f16_e32 v10, v12, v10
	v_add_f16_e32 v124, v129, v124
	v_mul_f16_e32 v129, 0x3bf1, v53
	v_add_f16_e32 v123, v125, v123
	v_fma_f16 v125, v52, s1, -v128
	v_add_f16_e32 v109, v111, v109
	v_fma_f16 v111, v52, s11, -v114
	;; [unrolled: 2-line block ×4, first 2 shown]
	v_add_f16_e32 v59, v60, v59
	v_fma_f16 v60, v49, s12, v50
	s_movk_i32 s12, 0x394e
	v_mul_f16_e32 v52, 0xb9fd, v52
	v_add_f16_e32 v10, v10, v11
	v_fma_f16 v130, v54, s10, v129
	v_add_f16_e32 v123, v125, v123
	v_fma_f16 v125, v54, s10, -v129
	v_add_f16_e32 v109, v111, v109
	v_fma_f16 v111, v54, s1, -v115
	;; [unrolled: 2-line block ×4, first 2 shown]
	v_add_f16_e32 v59, v60, v59
	v_fma_f16 v60, v51, s12, v52
	s_movk_i32 s12, 0x33a8
	v_mul_f16_e32 v54, 0xbbc4, v54
	v_add_f16_e32 v10, v10, v14
	v_add_f16_e32 v59, v60, v59
	v_fma_f16 v60, v53, s12, v54
	v_add_f16_e32 v10, v10, v15
	s_mov_b32 s12, 0xb770
	v_add_f16_e32 v8, v10, v8
	v_fma_f16 v10, v43, s12, v44
	s_mov_b32 s12, 0xba95
	v_add_f16_e32 v124, v130, v124
	v_mul_f16_e32 v130, 0xb3a8, v56
	v_mul_f16_e32 v56, 0xb770, v56
	v_add_f16_e32 v10, v29, v10
	v_fma_f16 v11, v45, s12, v46
	s_mov_b32 s12, 0xbbf1
	v_add_f16_e32 v59, v60, v59
	v_fma_f16 v60, v55, s11, v56
	v_mul_f16_e32 v61, 0xba95, v67
	v_add_f16_e32 v10, v11, v10
	v_fma_f16 v11, v47, s12, v48
	s_mov_b32 s12, 0xbb7b
	v_add_f16_e32 v60, v28, v60
	v_fma_f16 v62, v66, s6, v61
	v_add_f16_e32 v10, v11, v10
	v_fma_f16 v11, v49, s12, v50
	s_mov_b32 s12, 0xb94e
	v_add_f16_e32 v60, v62, v60
	v_mul_f16_e32 v62, 0xbbf1, v70
	v_add_f16_e32 v8, v8, v9
	v_add_f16_e32 v9, v29, v42
	;; [unrolled: 1-line block ×3, first 2 shown]
	v_fma_f16 v11, v51, s12, v52
	s_mov_b32 s12, 0xb3a8
	v_fma_f16 v63, v69, s10, v62
	v_add_f16_e32 v9, v9, v39
	v_add_f16_e32 v10, v11, v10
	v_fma_f16 v11, v53, s12, v54
	v_add_f16_e32 v60, v63, v60
	v_mul_f16_e32 v63, 0xbb7b, v73
	v_add_f16_e32 v9, v9, v41
	v_add_f16_e32 v10, v11, v10
	v_fma_f16 v11, v55, s11, -v56
	v_mul_f16_e32 v132, 0x3770, v67
	v_fma_f16 v67, v72, s1, v63
	v_add_f16_e32 v9, v9, v38
	v_add_f16_e32 v11, v28, v11
	v_fma_f16 v12, v66, s6, -v61
	v_fma_f16 v131, v55, s0, -v130
	v_add_f16_e32 v60, v67, v60
	v_mul_f16_e32 v67, 0xb94e, v76
	v_add_f16_e32 v9, v9, v40
	v_add_f16_e32 v11, v12, v11
	v_fma_f16 v12, v69, s10, -v62
	v_add_f16_e32 v131, v28, v131
	v_fma_f16 v133, v66, s11, -v132
	v_fma_f16 v68, v75, s7, v67
	v_add_f16_e32 v9, v9, v36
	v_add_f16_e32 v11, v12, v11
	v_fma_f16 v12, v72, s1, -v63
	v_add_f16_e32 v131, v133, v131
	v_mul_f16_e32 v133, 0xb94e, v70
	v_add_f16_e32 v81, v83, v81
	v_fma_f16 v83, v55, s10, v88
	v_add_f16_e32 v60, v68, v60
	v_mul_f16_e32 v68, 0xb3a8, v79
	v_add_f16_e32 v9, v9, v37
	v_add_f16_e32 v11, v12, v11
	v_fma_f16 v12, v75, s7, -v67
	v_fma_f16 v134, v69, s7, -v133
	v_add_f16_e32 v109, v111, v109
	v_fma_f16 v111, v55, s7, v116
	v_add_f16_e32 v95, v97, v95
	v_fma_f16 v97, v55, s1, v102
	;; [unrolled: 2-line block ×3, first 2 shown]
	v_add_f16_e32 v9, v9, v31
	v_add_f16_e32 v11, v12, v11
	v_fma_f16 v12, v78, s0, -v68
	v_add_f16_e32 v131, v134, v131
	v_mul_f16_e32 v134, 0x3a95, v73
	v_add_f16_e32 v123, v125, v123
	v_fma_f16 v125, v55, s0, v130
	v_add_f16_e32 v111, v28, v111
	v_fma_f16 v112, v66, s10, v118
	;; [unrolled: 2-line block ×4, first 2 shown]
	v_add_f16_e32 v8, v8, v16
	v_add_f16_e32 v9, v9, v33
	;; [unrolled: 1-line block ×3, first 2 shown]
	v_lshrrev_b32_e32 v12, 2, v0
	v_fma_f16 v135, v72, s6, -v134
	v_add_f16_e32 v125, v28, v125
	v_fma_f16 v126, v66, s11, v132
	v_add_f16_e32 v111, v112, v111
	v_fma_f16 v112, v69, s6, v119
	;; [unrolled: 2-line block ×4, first 2 shown]
	v_add_f16_e32 v8, v8, v17
	v_add_f16_e32 v9, v9, v32
	v_mul_u32_u24_e32 v12, 52, v12
	v_add_f16_e32 v131, v135, v131
	v_mul_f16_e32 v135, 0xbb7b, v76
	v_add_f16_e32 v125, v126, v125
	v_fma_f16 v126, v69, s7, v133
	v_add_f16_e32 v111, v112, v111
	v_fma_f16 v112, v72, s0, v120
	;; [unrolled: 2-line block ×4, first 2 shown]
	v_fma_f16 v70, v78, s0, v68
	v_add_f16_e32 v8, v8, v18
	v_add_f16_e32 v9, v9, v34
	v_or_b32_e32 v12, v12, v30
	v_fma_f16 v136, v75, s1, -v135
	v_add_f16_e32 v125, v126, v125
	v_fma_f16 v126, v72, s6, v134
	v_add_f16_e32 v111, v112, v111
	v_fma_f16 v112, v75, s11, v121
	;; [unrolled: 2-line block ×4, first 2 shown]
	v_add_f16_e32 v60, v70, v60
	v_add_f16_e32 v8, v8, v19
	;; [unrolled: 1-line block ×3, first 2 shown]
	v_lshlrev_b32_e32 v12, 2, v12
	v_add_f16_e32 v131, v136, v131
	v_mul_f16_e32 v136, 0x3bf1, v79
	v_add_f16_e32 v125, v126, v125
	v_fma_f16 v126, v75, s1, v135
	v_add_f16_e32 v111, v112, v111
	v_fma_f16 v112, v78, s1, v122
	;; [unrolled: 2-line block ×3, first 2 shown]
	v_add_f16_e32 v83, v84, v83
	v_add3_u32 v12, 0, v12, v21
	v_pack_b32_f16 v8, v8, v9
	v_pack_b32_f16 v9, v60, v59
	v_fma_f16 v137, v78, s10, -v136
	v_add_f16_e32 v125, v126, v125
	v_fma_f16 v126, v78, s10, v136
	v_add_f16_e32 v111, v112, v111
	v_add_f16_e32 v97, v98, v97
	ds_write2_b32 v12, v8, v9 offset1:4
	v_pack_b32_f16 v8, v58, v57
	v_pack_b32_f16 v9, v83, v81
	v_add_f16_e32 v131, v137, v131
	v_add_f16_e32 v125, v126, v125
	ds_write2_b32 v12, v8, v9 offset0:8 offset1:12
	v_pack_b32_f16 v8, v97, v95
	v_pack_b32_f16 v9, v111, v109
	ds_write2_b32 v12, v8, v9 offset0:16 offset1:20
	v_pack_b32_f16 v8, v125, v123
	v_pack_b32_f16 v9, v131, v124
	;; [unrolled: 3-line block ×4, first 2 shown]
	ds_write2_b32 v12, v8, v9 offset0:40 offset1:44
	v_pack_b32_f16 v8, v11, v10
	ds_write_b32 v12, v8 offset:192
.LBB0_20:
	s_or_b64 exec, exec, s[4:5]
	s_movk_i32 s0, 0x4ec5
	v_mul_u32_u24_sdwa v28, v23, s0 dst_sel:DWORD dst_unused:UNUSED_PAD src0_sel:WORD_0 src1_sel:DWORD
	v_lshrrev_b32_e32 v29, 20, v28
	v_mul_lo_u16_e32 v8, 52, v29
	v_sub_u16_e32 v8, v23, v8
	v_mul_u32_u24_sdwa v9, v27, s0 dst_sel:DWORD dst_unused:UNUSED_PAD src0_sel:WORD_0 src1_sel:DWORD
	v_mul_u32_u24_sdwa v10, v26, s0 dst_sel:DWORD dst_unused:UNUSED_PAD src0_sel:WORD_0 src1_sel:DWORD
	v_lshlrev_b32_e32 v32, 2, v8
	v_subrev_u32_e32 v8, 52, v0
	v_cmp_gt_u32_e64 s[0:1], 52, v0
	v_cndmask_b32_e64 v8, v8, v0, s[0:1]
	s_movk_i32 s0, 0x4f
	v_lshrrev_b32_e32 v30, 20, v9
	v_mul_lo_u16_sdwa v36, v24, s0 dst_sel:DWORD dst_unused:UNUSED_PAD src0_sel:BYTE_0 src1_sel:DWORD
	v_mul_lo_u16_e32 v9, 52, v30
	v_lshrrev_b16_e32 v37, 12, v36
	v_sub_u16_e32 v9, v27, v9
	v_lshrrev_b32_e32 v27, 20, v10
	v_mul_lo_u16_e32 v12, 52, v37
	v_mul_lo_u16_e32 v10, 52, v27
	v_sub_u16_e32 v12, v24, v12
	v_mov_b32_e32 v38, 2
	v_sub_u16_e32 v10, v26, v10
	v_lshlrev_b32_sdwa v39, v38, v12 dst_sel:DWORD dst_unused:UNUSED_PAD src0_sel:DWORD src1_sel:BYTE_0
	v_mul_lo_u16_sdwa v12, v25, s0 dst_sel:DWORD dst_unused:UNUSED_PAD src0_sel:BYTE_0 src1_sel:DWORD
	v_lshlrev_b32_e32 v26, 2, v10
	v_lshlrev_b32_e32 v33, 2, v9
	v_mov_b32_e32 v9, 0
	v_lshrrev_b16_e32 v41, 12, v12
	s_waitcnt lgkmcnt(0)
	s_barrier
	global_load_dword v31, v26, s[8:9] offset:200
	v_lshlrev_b64 v[10:11], 2, v[8:9]
	v_mul_lo_u16_e32 v12, 52, v41
	global_load_dword v34, v33, s[8:9] offset:200
	global_load_dword v35, v32, s[8:9] offset:200
	v_sub_u16_e32 v12, v25, v12
	global_load_dword v40, v39, s[8:9] offset:200
	v_lshlrev_b32_sdwa v42, v38, v12 dst_sel:DWORD dst_unused:UNUSED_PAD src0_sel:DWORD src1_sel:BYTE_0
	global_load_dword v43, v42, s[8:9] offset:200
	v_mov_b32_e32 v44, s9
	v_add_co_u32_e64 v10, s[0:1], s8, v10
	v_addc_co_u32_e64 v11, s[0:1], v44, v11, s[0:1]
	global_load_dword v45, v[10:11], off offset:200
	v_add_u32_e32 v46, 0x400, v1
	ds_read2_b32 v[10:11], v1 offset0:78 offset1:156
	v_add_u32_e32 v47, 0x800, v1
	v_add_u32_e32 v48, 0x200, v1
	;; [unrolled: 1-line block ×3, first 2 shown]
	ds_read_b32 v51, v22
	ds_read_b32 v52, v1 offset:3432
	ds_read2_b32 v[12:13], v46 offset0:134 offset1:212
	ds_read2_b32 v[14:15], v47 offset0:34 offset1:112
	ds_read2_b32 v[16:17], v48 offset0:106 offset1:184
	ds_read2_b32 v[18:19], v49 offset0:62 offset1:140
	s_movk_i32 s5, 0x1a0
	v_mad_u32_u24 v29, v29, s5, 0
	v_mad_u32_u24 v27, v27, s5, 0
	;; [unrolled: 1-line block ×4, first 2 shown]
	v_add3_u32 v29, v29, v32, v21
	v_add3_u32 v26, v27, v26, v21
	s_mov_b32 s4, 0xffff
	v_add3_u32 v37, v37, v39, v21
	v_add3_u32 v30, v30, v33, v21
	v_mov_b32_e32 v50, 0x1a0
	v_cmp_lt_u32_e64 s[0:1], 51, v0
	v_cndmask_b32_e64 v50, 0, v50, s[0:1]
	v_add_u32_e32 v50, 0, v50
	v_lshlrev_b32_e32 v8, 2, v8
	v_add3_u32 v8, v50, v8, v21
	v_mad_u32_u24 v41, v41, s5, 0
	v_add3_u32 v41, v41, v42, v21
	s_waitcnt vmcnt(0) lgkmcnt(0)
	s_barrier
	s_movk_i32 s5, 0x3aee
	s_movk_i32 s6, 0x4e0
	v_pk_mul_f16 v27, v52, v31 op_sel:[0,1]
	v_pk_fma_f16 v39, v52, v31, v27 op_sel:[0,0,1] op_sel_hi:[1,1,0]
	v_pk_mul_f16 v32, v34, v19 op_sel:[0,1]
	v_pk_mul_f16 v33, v35, v18 op_sel:[0,1]
	v_pk_fma_f16 v27, v52, v31, v27 op_sel:[0,0,1] op_sel_hi:[1,0,0] neg_lo:[0,0,1] neg_hi:[0,0,1]
	v_pk_fma_f16 v31, v34, v19, v32 op_sel:[0,0,1] op_sel_hi:[1,1,0]
	v_pk_fma_f16 v19, v34, v19, v32 op_sel:[0,0,1] op_sel_hi:[1,0,0] neg_lo:[1,0,0] neg_hi:[1,0,0]
	v_pk_fma_f16 v32, v35, v18, v33 op_sel:[0,0,1] op_sel_hi:[1,1,0]
	v_pk_fma_f16 v18, v35, v18, v33 op_sel:[0,0,1] op_sel_hi:[1,0,0] neg_lo:[1,0,0] neg_hi:[1,0,0]
	v_bfi_b32 v19, s4, v31, v19
	v_pk_mul_f16 v31, v40, v15 op_sel:[0,1]
	v_bfi_b32 v18, s4, v32, v18
	v_pk_fma_f16 v32, v40, v15, v31 op_sel:[0,0,1] op_sel_hi:[1,1,0]
	v_pk_fma_f16 v15, v40, v15, v31 op_sel:[0,0,1] op_sel_hi:[1,0,0] neg_lo:[1,0,0] neg_hi:[1,0,0]
	v_pk_mul_f16 v31, v43, v14 op_sel:[0,1]
	v_bfi_b32 v15, s4, v32, v15
	v_pk_fma_f16 v32, v43, v14, v31 op_sel:[0,0,1] op_sel_hi:[1,1,0]
	v_pk_fma_f16 v14, v43, v14, v31 op_sel:[0,0,1] op_sel_hi:[1,0,0] neg_lo:[1,0,0] neg_hi:[1,0,0]
	;; [unrolled: 4-line block ×3, first 2 shown]
	v_bfi_b32 v13, s4, v32, v13
	v_bfi_b32 v27, s4, v39, v27
	v_pk_add_f16 v13, v51, v13 neg_lo:[0,1] neg_hi:[0,1]
	v_pk_add_f16 v27, v12, v27 neg_lo:[0,1] neg_hi:[0,1]
	;; [unrolled: 1-line block ×6, first 2 shown]
	v_pk_fma_f16 v31, v51, 2.0, v13 op_sel_hi:[1,0,1] neg_lo:[0,0,1] neg_hi:[0,0,1]
	v_pk_fma_f16 v12, v12, 2.0, v27 op_sel_hi:[1,0,1] neg_lo:[0,0,1] neg_hi:[0,0,1]
	;; [unrolled: 1-line block ×6, first 2 shown]
	ds_write2_b32 v8, v31, v13 offset1:52
	ds_write2_b32 v41, v10, v14 offset1:52
	;; [unrolled: 1-line block ×6, first 2 shown]
	v_mov_b32_e32 v8, v9
	v_lshlrev_b64 v[7:8], 2, v[7:8]
	s_waitcnt lgkmcnt(0)
	v_add_co_u32_e64 v10, s[0:1], s8, v7
	v_addc_co_u32_e64 v11, s[0:1], v44, v8, s[0:1]
	v_subrev_u32_e32 v7, 26, v0
	v_cmp_gt_u32_e64 s[0:1], 26, v0
	v_cndmask_b32_e64 v31, v7, v25, s[0:1]
	v_lshlrev_b32_e32 v8, 1, v31
	v_lshlrev_b64 v[7:8], 2, v[8:9]
	s_barrier
	global_load_dwordx2 v[12:13], v[10:11], off offset:408
	v_add_co_u32_e64 v7, s[0:1], s8, v7
	v_addc_co_u32_e64 v8, s[0:1], v44, v8, s[0:1]
	global_load_dwordx2 v[7:8], v[7:8], off offset:408
	v_lshrrev_b16_e32 v32, 13, v36
	v_mul_lo_u16_e32 v14, 0x68, v32
	v_sub_u16_e32 v33, v24, v14
	v_mov_b32_e32 v14, 3
	v_lshlrev_b32_sdwa v14, v14, v33 dst_sel:DWORD dst_unused:UNUSED_PAD src0_sel:DWORD src1_sel:BYTE_0
	v_lshrrev_b32_e32 v16, 21, v28
	global_load_dwordx2 v[14:15], v14, s[8:9] offset:408
	v_mul_lo_u16_e32 v16, 0x68, v16
	v_sub_u16_e32 v34, v23, v16
	v_lshlrev_b32_e32 v16, 3, v34
	global_load_dwordx2 v[16:17], v16, s[8:9] offset:408
	ds_read2_b32 v[18:19], v48 offset0:106 offset1:184
	ds_read2_b32 v[23:24], v47 offset0:34 offset1:112
	ds_read_b32 v35, v22
	ds_read2_b32 v[25:26], v1 offset0:78 offset1:156
	ds_read2_b32 v[27:28], v46 offset0:134 offset1:212
	;; [unrolled: 1-line block ×3, first 2 shown]
	ds_read_b32 v36, v1 offset:3432
	s_waitcnt lgkmcnt(6)
	v_lshrrev_b32_e32 v50, 16, v19
	s_waitcnt lgkmcnt(5)
	v_lshrrev_b32_e32 v51, 16, v24
	v_lshrrev_b32_e32 v43, 16, v23
	s_waitcnt lgkmcnt(1)
	v_lshrrev_b32_e32 v41, 16, v30
	s_waitcnt lgkmcnt(0)
	v_lshrrev_b32_e32 v45, 16, v36
	v_lshrrev_b32_e32 v37, 16, v35
	s_mov_b32 s4, 0xbaee
	v_lshrrev_b32_e32 v39, 16, v25
	v_lshrrev_b32_e32 v40, 16, v26
	;; [unrolled: 1-line block ×3, first 2 shown]
	s_waitcnt vmcnt(0)
	s_barrier
	v_cmp_lt_u32_e64 s[0:1], 25, v0
	v_mul_f16_sdwa v52, v12, v50 dst_sel:DWORD dst_unused:UNUSED_PAD src0_sel:WORD_1 src1_sel:DWORD
	v_mul_f16_sdwa v53, v12, v19 dst_sel:DWORD dst_unused:UNUSED_PAD src0_sel:WORD_1 src1_sel:DWORD
	;; [unrolled: 1-line block ×3, first 2 shown]
	v_fma_f16 v19, v12, v19, v52
	v_fma_f16 v12, v12, v50, -v53
	v_fma_f16 v50, v13, v24, v54
	v_mul_f16_sdwa v24, v13, v24 dst_sel:DWORD dst_unused:UNUSED_PAD src0_sel:WORD_1 src1_sel:DWORD
	v_fma_f16 v13, v13, v51, -v24
	v_lshrrev_b32_e32 v24, 16, v27
	v_mul_f16_sdwa v51, v7, v24 dst_sel:DWORD dst_unused:UNUSED_PAD src0_sel:WORD_1 src1_sel:DWORD
	v_fma_f16 v51, v7, v27, v51
	v_mul_f16_sdwa v27, v7, v27 dst_sel:DWORD dst_unused:UNUSED_PAD src0_sel:WORD_1 src1_sel:DWORD
	v_fma_f16 v7, v7, v24, -v27
	v_lshrrev_b32_e32 v24, 16, v29
	v_mul_f16_sdwa v27, v8, v24 dst_sel:DWORD dst_unused:UNUSED_PAD src0_sel:WORD_1 src1_sel:DWORD
	;; [unrolled: 5-line block ×3, first 2 shown]
	v_fma_f16 v29, v14, v28, v29
	v_mul_f16_sdwa v28, v14, v28 dst_sel:DWORD dst_unused:UNUSED_PAD src0_sel:WORD_1 src1_sel:DWORD
	v_fma_f16 v14, v14, v24, -v28
	v_mul_f16_sdwa v24, v41, v15 dst_sel:DWORD dst_unused:UNUSED_PAD src0_sel:DWORD src1_sel:WORD_1
	v_mul_f16_sdwa v28, v30, v15 dst_sel:DWORD dst_unused:UNUSED_PAD src0_sel:DWORD src1_sel:WORD_1
	v_fma_f16 v24, v30, v15, v24
	v_fma_f16 v15, v41, v15, -v28
	v_mul_f16_sdwa v28, v43, v16 dst_sel:DWORD dst_unused:UNUSED_PAD src0_sel:DWORD src1_sel:WORD_1
	v_fma_f16 v28, v23, v16, v28
	v_mul_f16_sdwa v23, v23, v16 dst_sel:DWORD dst_unused:UNUSED_PAD src0_sel:DWORD src1_sel:WORD_1
	v_fma_f16 v16, v43, v16, -v23
	v_mul_f16_sdwa v23, v45, v17 dst_sel:DWORD dst_unused:UNUSED_PAD src0_sel:DWORD src1_sel:WORD_1
	v_fma_f16 v23, v36, v17, v23
	v_mul_f16_sdwa v30, v36, v17 dst_sel:DWORD dst_unused:UNUSED_PAD src0_sel:DWORD src1_sel:WORD_1
	v_add_f16_e32 v36, v19, v50
	v_fma_f16 v17, v45, v17, -v30
	v_add_f16_e32 v30, v35, v19
	v_fma_f16 v35, v36, -0.5, v35
	v_sub_f16_e32 v36, v12, v13
	v_fma_f16 v41, v36, s4, v35
	v_fma_f16 v35, v36, s5, v35
	v_add_f16_e32 v36, v37, v12
	v_add_f16_e32 v12, v12, v13
	;; [unrolled: 1-line block ×3, first 2 shown]
	v_fma_f16 v12, v12, -0.5, v37
	v_sub_f16_e32 v13, v19, v50
	v_add_f16_e32 v37, v51, v27
	v_fma_f16 v19, v13, s5, v12
	v_fma_f16 v12, v13, s4, v12
	v_add_f16_e32 v13, v25, v51
	v_fma_f16 v25, v37, -0.5, v25
	v_sub_f16_e32 v37, v7, v8
	v_fma_f16 v43, v37, s4, v25
	v_fma_f16 v25, v37, s5, v25
	v_add_f16_e32 v37, v39, v7
	v_add_f16_e32 v7, v7, v8
	;; [unrolled: 1-line block ×3, first 2 shown]
	v_fma_f16 v7, v7, -0.5, v39
	v_sub_f16_e32 v8, v51, v27
	v_add_f16_e32 v39, v29, v24
	v_add_f16_e32 v13, v13, v27
	v_fma_f16 v27, v8, s5, v7
	v_fma_f16 v7, v8, s4, v7
	v_add_f16_e32 v8, v26, v29
	v_fma_f16 v26, v39, -0.5, v26
	v_sub_f16_e32 v39, v14, v15
	v_fma_f16 v45, v39, s4, v26
	v_fma_f16 v26, v39, s5, v26
	v_add_f16_e32 v39, v40, v14
	v_add_f16_e32 v14, v14, v15
	;; [unrolled: 1-line block ×3, first 2 shown]
	v_fma_f16 v14, v14, -0.5, v40
	v_sub_f16_e32 v15, v29, v24
	v_add_f16_e32 v29, v28, v23
	v_add_f16_e32 v8, v8, v24
	v_fma_f16 v24, v15, s5, v14
	v_fma_f16 v14, v15, s4, v14
	v_add_f16_e32 v15, v18, v28
	v_fma_f16 v18, v29, -0.5, v18
	v_sub_f16_e32 v29, v16, v17
	v_fma_f16 v40, v29, s4, v18
	v_fma_f16 v18, v29, s5, v18
	v_add_f16_e32 v29, v42, v16
	v_add_f16_e32 v16, v16, v17
	v_pack_b32_f16 v12, v35, v12
	v_add_f16_e32 v30, v30, v50
	v_add_f16_e32 v29, v29, v17
	v_fma_f16 v16, v16, -0.5, v42
	v_sub_f16_e32 v17, v28, v23
	ds_write_b32 v1, v12 offset:832
	v_mov_b32_e32 v12, 0x4e0
	v_add_f16_e32 v15, v15, v23
	v_fma_f16 v23, v17, s5, v16
	v_fma_f16 v16, v17, s4, v16
	v_pack_b32_f16 v17, v30, v36
	v_pack_b32_f16 v19, v41, v19
	v_cndmask_b32_e64 v12, 0, v12, s[0:1]
	ds_write2_b32 v1, v17, v19 offset1:104
	v_add_u32_e32 v12, 0, v12
	v_lshlrev_b32_e32 v17, 2, v31
	v_add3_u32 v12, v12, v17, v21
	v_pack_b32_f16 v13, v13, v37
	v_pack_b32_f16 v17, v43, v27
	;; [unrolled: 1-line block ×3, first 2 shown]
	ds_write2_b32 v12, v13, v17 offset1:104
	ds_write_b32 v12, v7 offset:832
	v_mad_u32_u24 v7, v32, s6, 0
	v_lshlrev_b32_sdwa v12, v38, v33 dst_sel:DWORD dst_unused:UNUSED_PAD src0_sel:DWORD src1_sel:BYTE_0
	v_add3_u32 v7, v7, v12, v21
	v_pack_b32_f16 v8, v8, v39
	v_pack_b32_f16 v12, v45, v24
	ds_write2_b32 v7, v8, v12 offset1:104
	v_pack_b32_f16 v8, v26, v14
	ds_write_b32 v7, v8 offset:832
	v_lshlrev_b32_e32 v7, 2, v34
	v_add3_u32 v7, 0, v7, v21
	v_pack_b32_f16 v8, v15, v29
	v_pack_b32_f16 v12, v40, v23
	v_add_u32_e32 v13, 0x800, v7
	ds_write2_b32 v13, v8, v12 offset0:112 offset1:216
	v_pack_b32_f16 v8, v18, v16
	ds_write_b32 v7, v8 offset:3328
	s_waitcnt lgkmcnt(0)
	s_barrier
	global_load_dwordx2 v[10:11], v[10:11], off offset:1240
	v_mov_b32_e32 v7, v9
	v_lshlrev_b64 v[6:7], 2, v[6:7]
	v_add_co_u32_e64 v6, s[0:1], s8, v6
	v_addc_co_u32_e64 v7, s[0:1], v44, v7, s[0:1]
	global_load_dwordx2 v[7:8], v[6:7], off offset:1240
	v_mov_b32_e32 v6, v9
	v_lshlrev_b64 v[5:6], 2, v[5:6]
	v_add_co_u32_e64 v5, s[0:1], s8, v5
	v_addc_co_u32_e64 v6, s[0:1], v44, v6, s[0:1]
	;; [unrolled: 5-line block ×3, first 2 shown]
	global_load_dwordx2 v[4:5], v[4:5], off offset:1240
	ds_read_b32 v6, v22
	ds_read2_b32 v[14:15], v1 offset0:78 offset1:156
	ds_read_b32 v25, v1 offset:3432
	ds_read2_b32 v[16:17], v48 offset0:106 offset1:184
	ds_read2_b32 v[18:19], v49 offset0:62 offset1:140
	;; [unrolled: 1-line block ×4, first 2 shown]
	s_waitcnt lgkmcnt(6)
	v_lshrrev_b32_e32 v26, 16, v6
	s_waitcnt lgkmcnt(3)
	v_lshrrev_b32_e32 v33, 16, v17
	s_waitcnt lgkmcnt(2)
	v_lshrrev_b32_e32 v29, 16, v19
	s_waitcnt lgkmcnt(1)
	v_lshrrev_b32_e32 v31, 16, v21
	v_lshrrev_b32_e32 v32, 16, v25
	v_lshrrev_b32_e32 v27, 16, v14
	;; [unrolled: 1-line block ×4, first 2 shown]
	s_waitcnt vmcnt(0) lgkmcnt(0)
	s_barrier
	v_mul_f16_sdwa v34, v10, v33 dst_sel:DWORD dst_unused:UNUSED_PAD src0_sel:WORD_1 src1_sel:DWORD
	v_fma_f16 v34, v10, v17, v34
	v_mul_f16_sdwa v17, v10, v17 dst_sel:DWORD dst_unused:UNUSED_PAD src0_sel:WORD_1 src1_sel:DWORD
	v_fma_f16 v10, v10, v33, -v17
	v_lshrrev_b32_e32 v17, 16, v22
	v_mul_f16_sdwa v33, v11, v17 dst_sel:DWORD dst_unused:UNUSED_PAD src0_sel:WORD_1 src1_sel:DWORD
	v_fma_f16 v33, v11, v22, v33
	v_mul_f16_sdwa v22, v11, v22 dst_sel:DWORD dst_unused:UNUSED_PAD src0_sel:WORD_1 src1_sel:DWORD
	v_fma_f16 v11, v11, v17, -v22
	v_lshrrev_b32_e32 v17, 16, v23
	v_mul_f16_sdwa v22, v7, v17 dst_sel:DWORD dst_unused:UNUSED_PAD src0_sel:WORD_1 src1_sel:DWORD
	v_fma_f16 v22, v7, v23, v22
	v_mul_f16_sdwa v23, v7, v23 dst_sel:DWORD dst_unused:UNUSED_PAD src0_sel:WORD_1 src1_sel:DWORD
	v_fma_f16 v7, v7, v17, -v23
	v_lshrrev_b32_e32 v17, 16, v18
	v_mul_f16_sdwa v23, v8, v17 dst_sel:DWORD dst_unused:UNUSED_PAD src0_sel:WORD_1 src1_sel:DWORD
	v_fma_f16 v23, v8, v18, v23
	v_mul_f16_sdwa v18, v8, v18 dst_sel:DWORD dst_unused:UNUSED_PAD src0_sel:WORD_1 src1_sel:DWORD
	v_fma_f16 v8, v8, v17, -v18
	v_lshrrev_b32_e32 v17, 16, v24
	v_mul_f16_sdwa v18, v12, v17 dst_sel:DWORD dst_unused:UNUSED_PAD src0_sel:WORD_1 src1_sel:DWORD
	v_fma_f16 v18, v12, v24, v18
	v_mul_f16_sdwa v24, v12, v24 dst_sel:DWORD dst_unused:UNUSED_PAD src0_sel:WORD_1 src1_sel:DWORD
	v_fma_f16 v12, v12, v17, -v24
	v_mul_f16_sdwa v17, v29, v13 dst_sel:DWORD dst_unused:UNUSED_PAD src0_sel:DWORD src1_sel:WORD_1
	v_fma_f16 v17, v19, v13, v17
	v_mul_f16_sdwa v19, v19, v13 dst_sel:DWORD dst_unused:UNUSED_PAD src0_sel:DWORD src1_sel:WORD_1
	v_fma_f16 v13, v29, v13, -v19
	v_mul_f16_sdwa v19, v31, v4 dst_sel:DWORD dst_unused:UNUSED_PAD src0_sel:DWORD src1_sel:WORD_1
	v_fma_f16 v19, v21, v4, v19
	v_mul_f16_sdwa v21, v21, v4 dst_sel:DWORD dst_unused:UNUSED_PAD src0_sel:DWORD src1_sel:WORD_1
	v_fma_f16 v4, v31, v4, -v21
	v_mul_f16_sdwa v21, v32, v5 dst_sel:DWORD dst_unused:UNUSED_PAD src0_sel:DWORD src1_sel:WORD_1
	v_fma_f16 v21, v25, v5, v21
	v_mul_f16_sdwa v24, v25, v5 dst_sel:DWORD dst_unused:UNUSED_PAD src0_sel:DWORD src1_sel:WORD_1
	v_add_f16_e32 v25, v34, v33
	v_fma_f16 v5, v32, v5, -v24
	v_add_f16_e32 v24, v6, v34
	v_fma_f16 v6, v25, -0.5, v6
	v_sub_f16_e32 v25, v10, v11
	v_fma_f16 v29, v25, s4, v6
	v_fma_f16 v6, v25, s5, v6
	v_add_f16_e32 v25, v26, v10
	v_add_f16_e32 v10, v10, v11
	;; [unrolled: 1-line block ×3, first 2 shown]
	v_fma_f16 v10, v10, -0.5, v26
	v_sub_f16_e32 v11, v34, v33
	v_add_f16_e32 v31, v22, v23
	v_fma_f16 v26, v11, s5, v10
	v_fma_f16 v10, v11, s4, v10
	v_add_f16_e32 v11, v14, v22
	v_fma_f16 v14, v31, -0.5, v14
	v_sub_f16_e32 v31, v7, v8
	v_fma_f16 v32, v31, s4, v14
	v_fma_f16 v14, v31, s5, v14
	v_add_f16_e32 v31, v27, v7
	v_add_f16_e32 v7, v7, v8
	;; [unrolled: 1-line block ×4, first 2 shown]
	v_fma_f16 v7, v7, -0.5, v27
	v_sub_f16_e32 v8, v22, v23
	v_add_f16_e32 v23, v18, v17
	v_fma_f16 v22, v8, s5, v7
	v_fma_f16 v7, v8, s4, v7
	v_add_f16_e32 v8, v15, v18
	v_fma_f16 v15, v23, -0.5, v15
	v_sub_f16_e32 v23, v12, v13
	v_fma_f16 v27, v23, s4, v15
	v_fma_f16 v15, v23, s5, v15
	v_add_f16_e32 v23, v28, v12
	v_add_f16_e32 v12, v12, v13
	;; [unrolled: 1-line block ×3, first 2 shown]
	v_fma_f16 v12, v12, -0.5, v28
	v_sub_f16_e32 v13, v18, v17
	v_add_f16_e32 v18, v19, v21
	v_add_f16_e32 v8, v8, v17
	v_fma_f16 v17, v13, s5, v12
	v_fma_f16 v12, v13, s4, v12
	v_add_f16_e32 v13, v16, v19
	v_fma_f16 v16, v18, -0.5, v16
	v_sub_f16_e32 v18, v4, v5
	v_fma_f16 v28, v18, s4, v16
	v_fma_f16 v16, v18, s5, v16
	v_add_f16_e32 v18, v30, v4
	v_add_f16_e32 v4, v4, v5
	v_add_f16_e32 v24, v24, v33
	v_add_f16_e32 v18, v18, v5
	v_fma_f16 v4, v4, -0.5, v30
	v_sub_f16_e32 v5, v19, v21
	v_pack_b32_f16 v6, v6, v10
	v_add_f16_e32 v13, v13, v21
	v_fma_f16 v19, v5, s5, v4
	v_fma_f16 v4, v5, s4, v4
	v_pack_b32_f16 v5, v24, v25
	v_pack_b32_f16 v21, v29, v26
	ds_write_b32 v1, v6 offset:2496
	v_pack_b32_f16 v6, v11, v31
	ds_write_b32 v1, v21 offset:1248
	ds_write2_b32 v1, v5, v6 offset1:78
	ds_write_b16 v1, v32 offset:1560
	ds_write_b16 v1, v22 offset:1562
	;; [unrolled: 1-line block ×4, first 2 shown]
	v_pack_b32_f16 v5, v8, v23
	ds_write_b32 v1, v5 offset:624
	ds_write_b16 v1, v27 offset:1872
	ds_write_b16 v1, v17 offset:1874
	;; [unrolled: 1-line block ×4, first 2 shown]
	v_pack_b32_f16 v5, v13, v18
	ds_write_b32 v1, v5 offset:936
	ds_write_b16 v1, v28 offset:2184
	ds_write_b16 v1, v19 offset:2186
	ds_write_b16 v1, v16 offset:3432
	ds_write_b16 v1, v4 offset:3434
	s_waitcnt lgkmcnt(0)
	s_barrier
	s_and_saveexec_b64 s[0:1], vcc
	s_cbranch_execz .LBB0_22
; %bb.21:
	v_lshl_add_u32 v6, v0, 2, v20
	v_mov_b32_e32 v1, v9
	ds_read2_b32 v[4:5], v6 offset1:78
	v_mov_b32_e32 v7, s3
	v_add_co_u32_e32 v10, vcc, s2, v2
	v_lshlrev_b64 v[1:2], 2, v[0:1]
	v_addc_co_u32_e32 v7, vcc, v7, v3, vcc
	v_add_co_u32_e32 v1, vcc, v10, v1
	v_addc_co_u32_e32 v2, vcc, v7, v2, vcc
	v_add_u32_e32 v8, 0x4e, v0
	s_waitcnt lgkmcnt(0)
	global_store_dword v[1:2], v4, off
	v_lshlrev_b64 v[1:2], 2, v[8:9]
	v_add_u32_e32 v8, 0x9c, v0
	v_add_co_u32_e32 v1, vcc, v10, v1
	v_addc_co_u32_e32 v2, vcc, v7, v2, vcc
	global_store_dword v[1:2], v5, off
	ds_read2_b32 v[1:2], v6 offset0:156 offset1:234
	v_lshlrev_b64 v[3:4], 2, v[8:9]
	v_add_u32_e32 v8, 0xea, v0
	v_add_co_u32_e32 v3, vcc, v10, v3
	v_addc_co_u32_e32 v4, vcc, v7, v4, vcc
	s_waitcnt lgkmcnt(0)
	global_store_dword v[3:4], v1, off
	v_lshlrev_b64 v[3:4], 2, v[8:9]
	v_add_u32_e32 v1, 0x400, v6
	v_add_co_u32_e32 v3, vcc, v10, v3
	v_addc_co_u32_e32 v4, vcc, v7, v4, vcc
	global_store_dword v[3:4], v2, off
	v_add_u32_e32 v8, 0x138, v0
	ds_read2_b32 v[1:2], v1 offset0:56 offset1:134
	v_lshlrev_b64 v[3:4], 2, v[8:9]
	v_add_u32_e32 v8, 0x186, v0
	v_add_co_u32_e32 v3, vcc, v10, v3
	v_addc_co_u32_e32 v4, vcc, v7, v4, vcc
	s_waitcnt lgkmcnt(0)
	global_store_dword v[3:4], v1, off
	v_lshlrev_b64 v[3:4], 2, v[8:9]
	v_add_u32_e32 v1, 0x600, v6
	v_add_co_u32_e32 v3, vcc, v10, v3
	v_addc_co_u32_e32 v4, vcc, v7, v4, vcc
	global_store_dword v[3:4], v2, off
	v_add_u32_e32 v8, 0x1d4, v0
	;; [unrolled: 13-line block ×4, first 2 shown]
	ds_read2_b32 v[1:2], v1 offset0:12 offset1:90
	v_lshlrev_b64 v[3:4], 2, v[8:9]
	v_add_u32_e32 v8, 0x35a, v0
	v_add_co_u32_e32 v3, vcc, v10, v3
	v_addc_co_u32_e32 v4, vcc, v7, v4, vcc
	s_waitcnt lgkmcnt(0)
	global_store_dword v[3:4], v1, off
	v_lshlrev_b64 v[0:1], 2, v[8:9]
	v_add_co_u32_e32 v0, vcc, v10, v0
	v_addc_co_u32_e32 v1, vcc, v7, v1, vcc
	global_store_dword v[0:1], v2, off
.LBB0_22:
	s_endpgm
	.section	.rodata,"a",@progbits
	.p2align	6, 0x0
	.amdhsa_kernel fft_rtc_back_len936_factors_2_2_13_2_3_3_wgs_234_tpt_78_halfLds_half_ip_CI_unitstride_sbrr_C2R_dirReg
		.amdhsa_group_segment_fixed_size 0
		.amdhsa_private_segment_fixed_size 0
		.amdhsa_kernarg_size 88
		.amdhsa_user_sgpr_count 6
		.amdhsa_user_sgpr_private_segment_buffer 1
		.amdhsa_user_sgpr_dispatch_ptr 0
		.amdhsa_user_sgpr_queue_ptr 0
		.amdhsa_user_sgpr_kernarg_segment_ptr 1
		.amdhsa_user_sgpr_dispatch_id 0
		.amdhsa_user_sgpr_flat_scratch_init 0
		.amdhsa_user_sgpr_private_segment_size 0
		.amdhsa_uses_dynamic_stack 0
		.amdhsa_system_sgpr_private_segment_wavefront_offset 0
		.amdhsa_system_sgpr_workgroup_id_x 1
		.amdhsa_system_sgpr_workgroup_id_y 0
		.amdhsa_system_sgpr_workgroup_id_z 0
		.amdhsa_system_sgpr_workgroup_info 0
		.amdhsa_system_vgpr_workitem_id 0
		.amdhsa_next_free_vgpr 138
		.amdhsa_next_free_sgpr 22
		.amdhsa_reserve_vcc 1
		.amdhsa_reserve_flat_scratch 0
		.amdhsa_float_round_mode_32 0
		.amdhsa_float_round_mode_16_64 0
		.amdhsa_float_denorm_mode_32 3
		.amdhsa_float_denorm_mode_16_64 3
		.amdhsa_dx10_clamp 1
		.amdhsa_ieee_mode 1
		.amdhsa_fp16_overflow 0
		.amdhsa_exception_fp_ieee_invalid_op 0
		.amdhsa_exception_fp_denorm_src 0
		.amdhsa_exception_fp_ieee_div_zero 0
		.amdhsa_exception_fp_ieee_overflow 0
		.amdhsa_exception_fp_ieee_underflow 0
		.amdhsa_exception_fp_ieee_inexact 0
		.amdhsa_exception_int_div_zero 0
	.end_amdhsa_kernel
	.text
.Lfunc_end0:
	.size	fft_rtc_back_len936_factors_2_2_13_2_3_3_wgs_234_tpt_78_halfLds_half_ip_CI_unitstride_sbrr_C2R_dirReg, .Lfunc_end0-fft_rtc_back_len936_factors_2_2_13_2_3_3_wgs_234_tpt_78_halfLds_half_ip_CI_unitstride_sbrr_C2R_dirReg
                                        ; -- End function
	.section	.AMDGPU.csdata,"",@progbits
; Kernel info:
; codeLenInByte = 10544
; NumSgprs: 26
; NumVgprs: 138
; ScratchSize: 0
; MemoryBound: 0
; FloatMode: 240
; IeeeMode: 1
; LDSByteSize: 0 bytes/workgroup (compile time only)
; SGPRBlocks: 3
; VGPRBlocks: 34
; NumSGPRsForWavesPerEU: 26
; NumVGPRsForWavesPerEU: 138
; Occupancy: 1
; WaveLimiterHint : 1
; COMPUTE_PGM_RSRC2:SCRATCH_EN: 0
; COMPUTE_PGM_RSRC2:USER_SGPR: 6
; COMPUTE_PGM_RSRC2:TRAP_HANDLER: 0
; COMPUTE_PGM_RSRC2:TGID_X_EN: 1
; COMPUTE_PGM_RSRC2:TGID_Y_EN: 0
; COMPUTE_PGM_RSRC2:TGID_Z_EN: 0
; COMPUTE_PGM_RSRC2:TIDIG_COMP_CNT: 0
	.type	__hip_cuid_7b60b7b1edfdf6c2,@object ; @__hip_cuid_7b60b7b1edfdf6c2
	.section	.bss,"aw",@nobits
	.globl	__hip_cuid_7b60b7b1edfdf6c2
__hip_cuid_7b60b7b1edfdf6c2:
	.byte	0                               ; 0x0
	.size	__hip_cuid_7b60b7b1edfdf6c2, 1

	.ident	"AMD clang version 19.0.0git (https://github.com/RadeonOpenCompute/llvm-project roc-6.4.0 25133 c7fe45cf4b819c5991fe208aaa96edf142730f1d)"
	.section	".note.GNU-stack","",@progbits
	.addrsig
	.addrsig_sym __hip_cuid_7b60b7b1edfdf6c2
	.amdgpu_metadata
---
amdhsa.kernels:
  - .args:
      - .actual_access:  read_only
        .address_space:  global
        .offset:         0
        .size:           8
        .value_kind:     global_buffer
      - .offset:         8
        .size:           8
        .value_kind:     by_value
      - .actual_access:  read_only
        .address_space:  global
        .offset:         16
        .size:           8
        .value_kind:     global_buffer
      - .actual_access:  read_only
        .address_space:  global
        .offset:         24
        .size:           8
        .value_kind:     global_buffer
      - .offset:         32
        .size:           8
        .value_kind:     by_value
      - .actual_access:  read_only
        .address_space:  global
        .offset:         40
        .size:           8
        .value_kind:     global_buffer
      - .actual_access:  read_only
        .address_space:  global
        .offset:         48
        .size:           8
        .value_kind:     global_buffer
      - .offset:         56
        .size:           4
        .value_kind:     by_value
      - .actual_access:  read_only
        .address_space:  global
        .offset:         64
        .size:           8
        .value_kind:     global_buffer
      - .actual_access:  read_only
        .address_space:  global
        .offset:         72
        .size:           8
        .value_kind:     global_buffer
      - .address_space:  global
        .offset:         80
        .size:           8
        .value_kind:     global_buffer
    .group_segment_fixed_size: 0
    .kernarg_segment_align: 8
    .kernarg_segment_size: 88
    .language:       OpenCL C
    .language_version:
      - 2
      - 0
    .max_flat_workgroup_size: 234
    .name:           fft_rtc_back_len936_factors_2_2_13_2_3_3_wgs_234_tpt_78_halfLds_half_ip_CI_unitstride_sbrr_C2R_dirReg
    .private_segment_fixed_size: 0
    .sgpr_count:     26
    .sgpr_spill_count: 0
    .symbol:         fft_rtc_back_len936_factors_2_2_13_2_3_3_wgs_234_tpt_78_halfLds_half_ip_CI_unitstride_sbrr_C2R_dirReg.kd
    .uniform_work_group_size: 1
    .uses_dynamic_stack: false
    .vgpr_count:     138
    .vgpr_spill_count: 0
    .wavefront_size: 64
amdhsa.target:   amdgcn-amd-amdhsa--gfx906
amdhsa.version:
  - 1
  - 2
...

	.end_amdgpu_metadata
